;; amdgpu-corpus repo=ROCm/rocFFT kind=compiled arch=gfx906 opt=O3
	.text
	.amdgcn_target "amdgcn-amd-amdhsa--gfx906"
	.amdhsa_code_object_version 6
	.protected	fft_rtc_fwd_len648_factors_8_3_3_3_3_wgs_216_tpt_216_halfLds_dp_op_CI_CI_unitstride_sbrr_R2C_dirReg ; -- Begin function fft_rtc_fwd_len648_factors_8_3_3_3_3_wgs_216_tpt_216_halfLds_dp_op_CI_CI_unitstride_sbrr_R2C_dirReg
	.globl	fft_rtc_fwd_len648_factors_8_3_3_3_3_wgs_216_tpt_216_halfLds_dp_op_CI_CI_unitstride_sbrr_R2C_dirReg
	.p2align	8
	.type	fft_rtc_fwd_len648_factors_8_3_3_3_3_wgs_216_tpt_216_halfLds_dp_op_CI_CI_unitstride_sbrr_R2C_dirReg,@function
fft_rtc_fwd_len648_factors_8_3_3_3_3_wgs_216_tpt_216_halfLds_dp_op_CI_CI_unitstride_sbrr_R2C_dirReg: ; @fft_rtc_fwd_len648_factors_8_3_3_3_3_wgs_216_tpt_216_halfLds_dp_op_CI_CI_unitstride_sbrr_R2C_dirReg
; %bb.0:
	s_load_dwordx4 s[8:11], s[4:5], 0x58
	s_load_dwordx4 s[12:15], s[4:5], 0x0
	;; [unrolled: 1-line block ×3, first 2 shown]
	v_mul_u32_u24_e32 v1, 0x130, v0
	v_add_u32_sdwa v5, s6, v1 dst_sel:DWORD dst_unused:UNUSED_PAD src0_sel:DWORD src1_sel:WORD_1
	v_mov_b32_e32 v3, 0
	s_waitcnt lgkmcnt(0)
	v_cmp_lt_u64_e64 s[0:1], s[14:15], 2
	v_mov_b32_e32 v1, 0
	v_mov_b32_e32 v6, v3
	s_and_b64 vcc, exec, s[0:1]
	v_mov_b32_e32 v2, 0
	s_cbranch_vccnz .LBB0_8
; %bb.1:
	s_load_dwordx2 s[0:1], s[4:5], 0x10
	s_add_u32 s2, s18, 8
	s_addc_u32 s3, s19, 0
	s_add_u32 s6, s16, 8
	v_mov_b32_e32 v1, 0
	s_addc_u32 s7, s17, 0
	v_mov_b32_e32 v2, 0
	s_waitcnt lgkmcnt(0)
	s_add_u32 s20, s0, 8
	v_mov_b32_e32 v33, v2
	s_addc_u32 s21, s1, 0
	s_mov_b64 s[22:23], 1
	v_mov_b32_e32 v32, v1
.LBB0_2:                                ; =>This Inner Loop Header: Depth=1
	s_load_dwordx2 s[24:25], s[20:21], 0x0
                                        ; implicit-def: $vgpr34_vgpr35
	s_waitcnt lgkmcnt(0)
	v_or_b32_e32 v4, s25, v6
	v_cmp_ne_u64_e32 vcc, 0, v[3:4]
	s_and_saveexec_b64 s[0:1], vcc
	s_xor_b64 s[26:27], exec, s[0:1]
	s_cbranch_execz .LBB0_4
; %bb.3:                                ;   in Loop: Header=BB0_2 Depth=1
	v_cvt_f32_u32_e32 v4, s24
	v_cvt_f32_u32_e32 v7, s25
	s_sub_u32 s0, 0, s24
	s_subb_u32 s1, 0, s25
	v_mac_f32_e32 v4, 0x4f800000, v7
	v_rcp_f32_e32 v4, v4
	v_mul_f32_e32 v4, 0x5f7ffffc, v4
	v_mul_f32_e32 v7, 0x2f800000, v4
	v_trunc_f32_e32 v7, v7
	v_mac_f32_e32 v4, 0xcf800000, v7
	v_cvt_u32_f32_e32 v7, v7
	v_cvt_u32_f32_e32 v4, v4
	v_mul_lo_u32 v8, s0, v7
	v_mul_hi_u32 v9, s0, v4
	v_mul_lo_u32 v11, s1, v4
	v_mul_lo_u32 v10, s0, v4
	v_add_u32_e32 v8, v9, v8
	v_add_u32_e32 v8, v8, v11
	v_mul_hi_u32 v9, v4, v10
	v_mul_lo_u32 v11, v4, v8
	v_mul_hi_u32 v13, v4, v8
	v_mul_hi_u32 v12, v7, v10
	v_mul_lo_u32 v10, v7, v10
	v_mul_hi_u32 v14, v7, v8
	v_add_co_u32_e32 v9, vcc, v9, v11
	v_addc_co_u32_e32 v11, vcc, 0, v13, vcc
	v_mul_lo_u32 v8, v7, v8
	v_add_co_u32_e32 v9, vcc, v9, v10
	v_addc_co_u32_e32 v9, vcc, v11, v12, vcc
	v_addc_co_u32_e32 v10, vcc, 0, v14, vcc
	v_add_co_u32_e32 v8, vcc, v9, v8
	v_addc_co_u32_e32 v9, vcc, 0, v10, vcc
	v_add_co_u32_e32 v4, vcc, v4, v8
	v_addc_co_u32_e32 v7, vcc, v7, v9, vcc
	v_mul_lo_u32 v8, s0, v7
	v_mul_hi_u32 v9, s0, v4
	v_mul_lo_u32 v10, s1, v4
	v_mul_lo_u32 v11, s0, v4
	v_add_u32_e32 v8, v9, v8
	v_add_u32_e32 v8, v8, v10
	v_mul_lo_u32 v12, v4, v8
	v_mul_hi_u32 v13, v4, v11
	v_mul_hi_u32 v14, v4, v8
	v_mul_hi_u32 v10, v7, v11
	v_mul_lo_u32 v11, v7, v11
	v_mul_hi_u32 v9, v7, v8
	v_add_co_u32_e32 v12, vcc, v13, v12
	v_addc_co_u32_e32 v13, vcc, 0, v14, vcc
	v_mul_lo_u32 v8, v7, v8
	v_add_co_u32_e32 v11, vcc, v12, v11
	v_addc_co_u32_e32 v10, vcc, v13, v10, vcc
	v_addc_co_u32_e32 v9, vcc, 0, v9, vcc
	v_add_co_u32_e32 v8, vcc, v10, v8
	v_addc_co_u32_e32 v9, vcc, 0, v9, vcc
	v_add_co_u32_e32 v4, vcc, v4, v8
	v_addc_co_u32_e32 v9, vcc, v7, v9, vcc
	v_mad_u64_u32 v[7:8], s[0:1], v5, v9, 0
	v_mul_hi_u32 v10, v5, v4
	v_add_co_u32_e32 v11, vcc, v10, v7
	v_addc_co_u32_e32 v12, vcc, 0, v8, vcc
	v_mad_u64_u32 v[7:8], s[0:1], v6, v4, 0
	v_mad_u64_u32 v[9:10], s[0:1], v6, v9, 0
	v_add_co_u32_e32 v4, vcc, v11, v7
	v_addc_co_u32_e32 v4, vcc, v12, v8, vcc
	v_addc_co_u32_e32 v7, vcc, 0, v10, vcc
	v_add_co_u32_e32 v4, vcc, v4, v9
	v_addc_co_u32_e32 v9, vcc, 0, v7, vcc
	v_mul_lo_u32 v10, s25, v4
	v_mul_lo_u32 v11, s24, v9
	v_mad_u64_u32 v[7:8], s[0:1], s24, v4, 0
	v_add3_u32 v8, v8, v11, v10
	v_sub_u32_e32 v10, v6, v8
	v_mov_b32_e32 v11, s25
	v_sub_co_u32_e32 v7, vcc, v5, v7
	v_subb_co_u32_e64 v10, s[0:1], v10, v11, vcc
	v_subrev_co_u32_e64 v11, s[0:1], s24, v7
	v_subbrev_co_u32_e64 v10, s[0:1], 0, v10, s[0:1]
	v_cmp_le_u32_e64 s[0:1], s25, v10
	v_cndmask_b32_e64 v12, 0, -1, s[0:1]
	v_cmp_le_u32_e64 s[0:1], s24, v11
	v_cndmask_b32_e64 v11, 0, -1, s[0:1]
	v_cmp_eq_u32_e64 s[0:1], s25, v10
	v_cndmask_b32_e64 v10, v12, v11, s[0:1]
	v_add_co_u32_e64 v11, s[0:1], 2, v4
	v_addc_co_u32_e64 v12, s[0:1], 0, v9, s[0:1]
	v_add_co_u32_e64 v13, s[0:1], 1, v4
	v_addc_co_u32_e64 v14, s[0:1], 0, v9, s[0:1]
	v_subb_co_u32_e32 v8, vcc, v6, v8, vcc
	v_cmp_ne_u32_e64 s[0:1], 0, v10
	v_cmp_le_u32_e32 vcc, s25, v8
	v_cndmask_b32_e64 v10, v14, v12, s[0:1]
	v_cndmask_b32_e64 v12, 0, -1, vcc
	v_cmp_le_u32_e32 vcc, s24, v7
	v_cndmask_b32_e64 v7, 0, -1, vcc
	v_cmp_eq_u32_e32 vcc, s25, v8
	v_cndmask_b32_e32 v7, v12, v7, vcc
	v_cmp_ne_u32_e32 vcc, 0, v7
	v_cndmask_b32_e64 v7, v13, v11, s[0:1]
	v_cndmask_b32_e32 v35, v9, v10, vcc
	v_cndmask_b32_e32 v34, v4, v7, vcc
.LBB0_4:                                ;   in Loop: Header=BB0_2 Depth=1
	s_andn2_saveexec_b64 s[0:1], s[26:27]
	s_cbranch_execz .LBB0_6
; %bb.5:                                ;   in Loop: Header=BB0_2 Depth=1
	v_cvt_f32_u32_e32 v4, s24
	s_sub_i32 s26, 0, s24
	v_mov_b32_e32 v35, v3
	v_rcp_iflag_f32_e32 v4, v4
	v_mul_f32_e32 v4, 0x4f7ffffe, v4
	v_cvt_u32_f32_e32 v4, v4
	v_mul_lo_u32 v7, s26, v4
	v_mul_hi_u32 v7, v4, v7
	v_add_u32_e32 v4, v4, v7
	v_mul_hi_u32 v4, v5, v4
	v_mul_lo_u32 v7, v4, s24
	v_add_u32_e32 v8, 1, v4
	v_sub_u32_e32 v7, v5, v7
	v_subrev_u32_e32 v9, s24, v7
	v_cmp_le_u32_e32 vcc, s24, v7
	v_cndmask_b32_e32 v7, v7, v9, vcc
	v_cndmask_b32_e32 v4, v4, v8, vcc
	v_add_u32_e32 v8, 1, v4
	v_cmp_le_u32_e32 vcc, s24, v7
	v_cndmask_b32_e32 v34, v4, v8, vcc
.LBB0_6:                                ;   in Loop: Header=BB0_2 Depth=1
	s_or_b64 exec, exec, s[0:1]
	v_mul_lo_u32 v4, v35, s24
	v_mul_lo_u32 v9, v34, s25
	v_mad_u64_u32 v[7:8], s[0:1], v34, s24, 0
	s_load_dwordx2 s[0:1], s[6:7], 0x0
	s_load_dwordx2 s[24:25], s[2:3], 0x0
	v_add3_u32 v4, v8, v9, v4
	v_sub_co_u32_e32 v5, vcc, v5, v7
	v_subb_co_u32_e32 v4, vcc, v6, v4, vcc
	s_waitcnt lgkmcnt(0)
	v_mul_lo_u32 v6, s0, v4
	v_mul_lo_u32 v7, s1, v5
	v_mad_u64_u32 v[1:2], s[0:1], s0, v5, v[1:2]
	v_mul_lo_u32 v4, s24, v4
	v_mul_lo_u32 v8, s25, v5
	v_mad_u64_u32 v[32:33], s[0:1], s24, v5, v[32:33]
	s_add_u32 s22, s22, 1
	s_addc_u32 s23, s23, 0
	s_add_u32 s2, s2, 8
	v_add3_u32 v33, v8, v33, v4
	s_addc_u32 s3, s3, 0
	v_mov_b32_e32 v4, s14
	s_add_u32 s6, s6, 8
	v_mov_b32_e32 v5, s15
	s_addc_u32 s7, s7, 0
	v_cmp_ge_u64_e32 vcc, s[22:23], v[4:5]
	s_add_u32 s20, s20, 8
	v_add3_u32 v2, v7, v2, v6
	s_addc_u32 s21, s21, 0
	s_cbranch_vccnz .LBB0_9
; %bb.7:                                ;   in Loop: Header=BB0_2 Depth=1
	v_mov_b32_e32 v5, v34
	v_mov_b32_e32 v6, v35
	s_branch .LBB0_2
.LBB0_8:
	v_mov_b32_e32 v33, v2
	v_mov_b32_e32 v35, v6
	;; [unrolled: 1-line block ×4, first 2 shown]
.LBB0_9:
	s_load_dwordx2 s[4:5], s[4:5], 0x28
	s_lshl_b64 s[6:7], s[14:15], 3
	s_add_u32 s2, s18, s6
	s_addc_u32 s3, s19, s7
                                        ; implicit-def: $vgpr36
	s_waitcnt lgkmcnt(0)
	v_cmp_gt_u64_e64 s[0:1], s[4:5], v[34:35]
	v_cmp_le_u64_e32 vcc, s[4:5], v[34:35]
	s_and_saveexec_b64 s[4:5], vcc
	s_xor_b64 s[4:5], exec, s[4:5]
; %bb.10:
	s_mov_b32 s14, 0x12f684c
	v_mul_hi_u32 v1, v0, s14
	v_mul_u32_u24_e32 v1, 0xd8, v1
	v_sub_u32_e32 v36, v0, v1
                                        ; implicit-def: $vgpr0
                                        ; implicit-def: $vgpr1_vgpr2
; %bb.11:
	s_andn2_saveexec_b64 s[4:5], s[4:5]
	s_cbranch_execz .LBB0_13
; %bb.12:
	s_add_u32 s6, s16, s6
	s_addc_u32 s7, s17, s7
	s_load_dwordx2 s[6:7], s[6:7], 0x0
	s_mov_b32 s14, 0x12f684c
	v_mul_hi_u32 v5, v0, s14
	s_waitcnt lgkmcnt(0)
	v_mul_lo_u32 v6, s7, v34
	v_mul_lo_u32 v7, s6, v35
	v_mad_u64_u32 v[3:4], s[6:7], s6, v34, 0
	v_mul_u32_u24_e32 v5, 0xd8, v5
	v_sub_u32_e32 v36, v0, v5
	v_add3_u32 v4, v4, v7, v6
	v_lshlrev_b64 v[3:4], 4, v[3:4]
	v_mov_b32_e32 v0, s9
	v_add_co_u32_e32 v3, vcc, s8, v3
	v_addc_co_u32_e32 v4, vcc, v0, v4, vcc
	v_lshlrev_b64 v[0:1], 4, v[1:2]
	v_lshlrev_b32_e32 v12, 4, v36
	v_add_co_u32_e32 v0, vcc, v3, v0
	v_addc_co_u32_e32 v1, vcc, v4, v1, vcc
	v_add_co_u32_e32 v8, vcc, v0, v12
	v_addc_co_u32_e32 v9, vcc, 0, v1, vcc
	global_load_dwordx4 v[0:3], v[8:9], off
	global_load_dwordx4 v[4:7], v[8:9], off offset:3456
	v_add_co_u32_e32 v8, vcc, 0x1000, v8
	v_addc_co_u32_e32 v9, vcc, 0, v9, vcc
	global_load_dwordx4 v[8:11], v[8:9], off offset:2816
	v_add_u32_e32 v12, 0, v12
	s_waitcnt vmcnt(2)
	ds_write_b128 v12, v[0:3]
	s_waitcnt vmcnt(1)
	ds_write_b128 v12, v[4:7] offset:3456
	s_waitcnt vmcnt(0)
	ds_write_b128 v12, v[8:11] offset:6912
.LBB0_13:
	s_or_b64 exec, exec, s[4:5]
	v_lshl_add_u32 v38, v36, 4, 0
	s_waitcnt lgkmcnt(0)
	s_barrier
	ds_read_b128 v[0:3], v38
	ds_read_b128 v[4:7], v38 offset:1296
	ds_read_b128 v[12:15], v38 offset:2592
	;; [unrolled: 1-line block ×7, first 2 shown]
	s_movk_i32 s4, 0x51
	v_cmp_gt_u32_e32 vcc, s4, v36
	s_waitcnt lgkmcnt(0)
	s_barrier
	s_and_saveexec_b64 s[4:5], vcc
	s_cbranch_execz .LBB0_15
; %bb.14:
	v_add_f64 v[30:31], v[14:15], -v[30:31]
	v_add_f64 v[28:29], v[12:13], -v[28:29]
	;; [unrolled: 1-line block ×8, first 2 shown]
	v_fma_f64 v[14:15], v[14:15], 2.0, -v[30:31]
	v_fma_f64 v[12:13], v[12:13], 2.0, -v[28:29]
	;; [unrolled: 1-line block ×8, first 2 shown]
	v_add_f64 v[28:29], v[18:19], v[28:29]
	v_add_f64 v[24:25], v[22:23], v[24:25]
	v_add_f64 v[26:27], v[20:21], -v[26:27]
	v_add_f64 v[39:40], v[16:17], -v[30:31]
	;; [unrolled: 1-line block ×6, first 2 shown]
	v_fma_f64 v[43:44], v[18:19], 2.0, -v[28:29]
	v_fma_f64 v[12:13], v[22:23], 2.0, -v[24:25]
	;; [unrolled: 1-line block ×4, first 2 shown]
	s_mov_b32 s6, 0x667f3bcd
	s_mov_b32 s7, 0x3fe6a09e
	;; [unrolled: 1-line block ×3, first 2 shown]
	v_fma_f64 v[6:7], v[6:7], 2.0, -v[10:11]
	v_fma_f64 v[4:5], v[4:5], 2.0, -v[8:9]
	;; [unrolled: 1-line block ×4, first 2 shown]
	s_mov_b32 s8, s6
	v_fma_f64 v[18:19], v[12:13], s[8:9], v[43:44]
	v_fma_f64 v[22:23], v[14:15], s[8:9], v[45:46]
	;; [unrolled: 1-line block ×4, first 2 shown]
	v_add_f64 v[0:1], v[41:42], -v[10:11]
	v_add_f64 v[6:7], v[20:21], -v[6:7]
	;; [unrolled: 1-line block ×3, first 2 shown]
	v_add_f64 v[2:3], v[30:31], v[8:9]
	v_fma_f64 v[10:11], v[14:15], s[6:7], v[18:19]
	v_fma_f64 v[8:9], v[12:13], s[8:9], v[22:23]
	;; [unrolled: 1-line block ×4, first 2 shown]
	v_fma_f64 v[16:17], v[41:42], 2.0, -v[0:1]
	v_fma_f64 v[22:23], v[20:21], 2.0, -v[6:7]
	v_fma_f64 v[20:21], v[47:48], 2.0, -v[4:5]
	v_fma_f64 v[18:19], v[30:31], 2.0, -v[2:3]
	v_fma_f64 v[26:27], v[43:44], 2.0, -v[10:11]
	v_fma_f64 v[24:25], v[45:46], 2.0, -v[8:9]
	v_fma_f64 v[30:31], v[28:29], 2.0, -v[14:15]
	v_fma_f64 v[28:29], v[39:40], 2.0, -v[12:13]
	s_movk_i32 s6, 0x70
	v_mad_u32_u24 v37, v36, s6, v38
	ds_write_b128 v37, v[20:23]
	ds_write_b128 v37, v[24:27] offset:16
	ds_write_b128 v37, v[16:19] offset:32
	;; [unrolled: 1-line block ×7, first 2 shown]
.LBB0_15:
	s_or_b64 exec, exec, s[4:5]
	v_and_b32_e32 v24, 7, v36
	v_lshlrev_b32_e32 v8, 5, v24
	s_load_dwordx2 s[2:3], s[2:3], 0x0
	s_waitcnt lgkmcnt(0)
	s_barrier
	global_load_dwordx4 v[0:3], v8, s[12:13]
	global_load_dwordx4 v[4:7], v8, s[12:13] offset:16
	ds_read_b128 v[8:11], v38 offset:3456
	ds_read_b128 v[12:15], v38 offset:6912
	ds_read_b128 v[16:19], v38
	s_mov_b32 s4, 0xe8584caa
	s_mov_b32 s5, 0x3febb67a
	;; [unrolled: 1-line block ×4, first 2 shown]
	s_movk_i32 s8, 0xab
	v_mul_lo_u16_sdwa v27, v36, s8 dst_sel:DWORD dst_unused:UNUSED_PAD src0_sel:BYTE_0 src1_sel:DWORD
	v_mov_b32_e32 v25, 5
	s_waitcnt vmcnt(0) lgkmcnt(0)
	s_barrier
	v_mov_b32_e32 v28, 4
	v_mul_f64 v[20:21], v[10:11], v[2:3]
	v_mul_f64 v[22:23], v[14:15], v[6:7]
	;; [unrolled: 1-line block ×4, first 2 shown]
	v_fma_f64 v[8:9], v[8:9], v[0:1], -v[20:21]
	v_fma_f64 v[12:13], v[12:13], v[4:5], -v[22:23]
	v_fma_f64 v[0:1], v[10:11], v[0:1], v[2:3]
	v_fma_f64 v[2:3], v[14:15], v[4:5], v[6:7]
	v_lshrrev_b32_e32 v6, 3, v36
	v_mul_u32_u24_e32 v26, 24, v6
	v_or_b32_e32 v24, v26, v24
	v_add_f64 v[10:11], v[16:17], v[8:9]
	v_add_f64 v[4:5], v[8:9], v[12:13]
	;; [unrolled: 1-line block ×4, first 2 shown]
	v_add_f64 v[14:15], v[0:1], -v[2:3]
	v_add_f64 v[22:23], v[8:9], -v[12:13]
	v_add_f64 v[0:1], v[10:11], v[12:13]
	v_fma_f64 v[16:17], v[4:5], -0.5, v[16:17]
	v_add_f64 v[2:3], v[20:21], v[2:3]
	v_fma_f64 v[18:19], v[6:7], -0.5, v[18:19]
	v_lshrrev_b16_e32 v20, 12, v27
	v_mul_lo_u16_e32 v13, 24, v20
	v_lshl_add_u32 v12, v24, 4, 0
	v_mul_u32_u24_e32 v24, 0x480, v20
	v_mov_b32_e32 v27, s13
	v_fma_f64 v[4:5], v[14:15], s[4:5], v[16:17]
	v_fma_f64 v[8:9], v[14:15], s[6:7], v[16:17]
	;; [unrolled: 1-line block ×4, first 2 shown]
	v_sub_u16_e32 v22, v36, v13
	v_lshlrev_b32_sdwa v13, v25, v22 dst_sel:DWORD dst_unused:UNUSED_PAD src0_sel:DWORD src1_sel:BYTE_0
	ds_write_b128 v12, v[0:3]
	ds_write_b128 v12, v[4:7] offset:128
	ds_write_b128 v12, v[8:11] offset:256
	s_waitcnt lgkmcnt(0)
	s_barrier
	global_load_dwordx4 v[0:3], v13, s[12:13] offset:256
	global_load_dwordx4 v[4:7], v13, s[12:13] offset:272
	ds_read_b128 v[8:11], v38 offset:3456
	ds_read_b128 v[12:15], v38 offset:6912
	v_lshlrev_b32_sdwa v22, v28, v22 dst_sel:DWORD dst_unused:UNUSED_PAD src0_sel:DWORD src1_sel:BYTE_0
	s_waitcnt vmcnt(1) lgkmcnt(1)
	v_mul_f64 v[16:17], v[10:11], v[2:3]
	s_waitcnt vmcnt(0) lgkmcnt(0)
	v_mul_f64 v[18:19], v[14:15], v[6:7]
	v_mul_f64 v[2:3], v[8:9], v[2:3]
	;; [unrolled: 1-line block ×3, first 2 shown]
	v_fma_f64 v[8:9], v[8:9], v[0:1], -v[16:17]
	v_fma_f64 v[12:13], v[12:13], v[4:5], -v[18:19]
	v_fma_f64 v[10:11], v[10:11], v[0:1], v[2:3]
	v_fma_f64 v[4:5], v[14:15], v[4:5], v[6:7]
	v_mov_b32_e32 v14, 57
	v_mul_lo_u16_sdwa v16, v36, v14 dst_sel:DWORD dst_unused:UNUSED_PAD src0_sel:BYTE_0 src1_sel:DWORD
	ds_read_b128 v[0:3], v38
	v_lshrrev_b16_e32 v23, 12, v16
	s_waitcnt lgkmcnt(0)
	v_add_f64 v[6:7], v[8:9], v[12:13]
	v_add_f64 v[20:21], v[8:9], -v[12:13]
	v_add_f64 v[14:15], v[10:11], v[4:5]
	v_add_f64 v[16:17], v[0:1], v[8:9]
	v_add_f64 v[18:19], v[10:11], -v[4:5]
	v_add_f64 v[10:11], v[2:3], v[10:11]
	s_barrier
	v_fma_f64 v[6:7], v[6:7], -0.5, v[0:1]
	v_mul_lo_u16_e32 v0, 0x48, v23
	v_fma_f64 v[14:15], v[14:15], -0.5, v[2:3]
	v_sub_u16_e32 v29, v36, v0
	v_add_f64 v[0:1], v[16:17], v[12:13]
	v_add_f64 v[2:3], v[10:11], v[4:5]
	v_lshlrev_b32_sdwa v12, v25, v29 dst_sel:DWORD dst_unused:UNUSED_PAD src0_sel:DWORD src1_sel:BYTE_0
	v_add3_u32 v13, 0, v24, v22
	v_fma_f64 v[4:5], v[18:19], s[4:5], v[6:7]
	v_fma_f64 v[8:9], v[18:19], s[6:7], v[6:7]
	;; [unrolled: 1-line block ×4, first 2 shown]
	ds_write_b128 v13, v[0:3]
	ds_write_b128 v13, v[4:7] offset:384
	ds_write_b128 v13, v[8:11] offset:768
	s_waitcnt lgkmcnt(0)
	s_barrier
	global_load_dwordx4 v[0:3], v12, s[12:13] offset:1024
	global_load_dwordx4 v[4:7], v12, s[12:13] offset:1040
	ds_read_b128 v[8:11], v38 offset:3456
	ds_read_b128 v[12:15], v38 offset:6912
	v_mul_u32_u24_e32 v30, 0xd80, v23
	s_waitcnt vmcnt(1) lgkmcnt(1)
	v_mul_f64 v[16:17], v[10:11], v[2:3]
	v_mul_f64 v[2:3], v[8:9], v[2:3]
	s_waitcnt vmcnt(0) lgkmcnt(0)
	v_mul_f64 v[18:19], v[14:15], v[6:7]
	v_mul_f64 v[6:7], v[12:13], v[6:7]
	v_fma_f64 v[16:17], v[8:9], v[0:1], -v[16:17]
	v_fma_f64 v[0:1], v[10:11], v[0:1], v[2:3]
	v_fma_f64 v[9:10], v[12:13], v[4:5], -v[18:19]
	v_fma_f64 v[11:12], v[14:15], v[4:5], v[6:7]
	ds_read_b128 v[5:8], v38
	v_lshlrev_b32_e32 v3, 1, v36
	v_mov_b32_e32 v4, 0
	v_lshlrev_b64 v[2:3], 4, v[3:4]
	s_waitcnt lgkmcnt(0)
	v_add_f64 v[20:21], v[5:6], v[16:17]
	v_add_f64 v[13:14], v[16:17], v[9:10]
	;; [unrolled: 1-line block ×4, first 2 shown]
	v_add_f64 v[22:23], v[0:1], -v[11:12]
	v_add_f64 v[15:16], v[16:17], -v[9:10]
	v_add_co_u32_e32 v26, vcc, s12, v2
	v_addc_co_u32_e32 v27, vcc, v27, v3, vcc
	v_fma_f64 v[13:14], v[13:14], -0.5, v[5:6]
	v_fma_f64 v[17:18], v[18:19], -0.5, v[7:8]
	v_add_f64 v[0:1], v[20:21], v[9:10]
	v_add_f64 v[2:3], v[24:25], v[11:12]
	s_barrier
	v_cmp_ne_u32_e32 vcc, 0, v36
	v_fma_f64 v[5:6], v[22:23], s[4:5], v[13:14]
	v_fma_f64 v[7:8], v[15:16], s[6:7], v[17:18]
	;; [unrolled: 1-line block ×4, first 2 shown]
	v_lshlrev_b32_sdwa v13, v28, v29 dst_sel:DWORD dst_unused:UNUSED_PAD src0_sel:DWORD src1_sel:BYTE_0
	v_add3_u32 v13, 0, v30, v13
	ds_write_b128 v13, v[0:3]
	ds_write_b128 v13, v[5:8] offset:1152
	ds_write_b128 v13, v[9:12] offset:2304
	s_waitcnt lgkmcnt(0)
	s_barrier
	global_load_dwordx4 v[0:3], v[26:27], off offset:3328
	global_load_dwordx4 v[5:8], v[26:27], off offset:3344
	ds_read_b128 v[9:12], v38 offset:3456
	ds_read_b128 v[13:16], v38 offset:6912
	s_waitcnt vmcnt(1) lgkmcnt(1)
	v_mul_f64 v[17:18], v[11:12], v[2:3]
	s_waitcnt vmcnt(0) lgkmcnt(0)
	v_mul_f64 v[19:20], v[15:16], v[7:8]
	v_mul_f64 v[2:3], v[9:10], v[2:3]
	;; [unrolled: 1-line block ×3, first 2 shown]
	v_fma_f64 v[9:10], v[9:10], v[0:1], -v[17:18]
	v_fma_f64 v[13:14], v[13:14], v[5:6], -v[19:20]
	v_fma_f64 v[11:12], v[11:12], v[0:1], v[2:3]
	v_fma_f64 v[5:6], v[15:16], v[5:6], v[7:8]
	ds_read_b128 v[0:3], v38
	s_waitcnt lgkmcnt(0)
	s_barrier
	v_add_f64 v[7:8], v[9:10], v[13:14]
	v_add_f64 v[17:18], v[0:1], v[9:10]
	;; [unrolled: 1-line block ×3, first 2 shown]
	v_add_f64 v[19:20], v[11:12], -v[5:6]
	v_add_f64 v[11:12], v[2:3], v[11:12]
	v_add_f64 v[21:22], v[9:10], -v[13:14]
	v_fma_f64 v[7:8], v[7:8], -0.5, v[0:1]
	v_add_f64 v[0:1], v[17:18], v[13:14]
	v_fma_f64 v[15:16], v[15:16], -0.5, v[2:3]
	v_add_f64 v[2:3], v[11:12], v[5:6]
	v_fma_f64 v[5:6], v[19:20], s[4:5], v[7:8]
	v_fma_f64 v[9:10], v[19:20], s[6:7], v[7:8]
	;; [unrolled: 1-line block ×4, first 2 shown]
	ds_write_b128 v38, v[0:3]
	ds_write_b128 v38, v[5:8] offset:3456
	ds_write_b128 v38, v[9:12] offset:6912
	s_waitcnt lgkmcnt(0)
	s_barrier
	ds_read_b128 v[0:3], v38
	s_add_u32 s6, s12, 0x2800
	v_lshlrev_b32_e32 v5, 4, v36
	s_addc_u32 s7, s13, 0
	v_sub_u32_e32 v9, 0, v5
                                        ; implicit-def: $vgpr7_vgpr8
                                        ; implicit-def: $vgpr5_vgpr6
	s_and_saveexec_b64 s[4:5], vcc
	s_xor_b64 s[4:5], exec, s[4:5]
	s_cbranch_execz .LBB0_17
; %bb.16:
	v_mov_b32_e32 v37, v4
	v_lshlrev_b64 v[4:5], 4, v[36:37]
	v_mov_b32_e32 v6, s7
	v_add_co_u32_e32 v4, vcc, s6, v4
	v_addc_co_u32_e32 v5, vcc, v6, v5, vcc
	global_load_dwordx4 v[10:13], v[4:5], off
	ds_read_b128 v[4:7], v9 offset:10368
	s_waitcnt lgkmcnt(0)
	v_add_f64 v[14:15], v[0:1], -v[4:5]
	v_add_f64 v[16:17], v[2:3], v[6:7]
	v_add_f64 v[2:3], v[2:3], -v[6:7]
	v_add_f64 v[0:1], v[0:1], v[4:5]
	v_mul_f64 v[6:7], v[14:15], 0.5
	v_mul_f64 v[14:15], v[16:17], 0.5
	;; [unrolled: 1-line block ×3, first 2 shown]
	s_waitcnt vmcnt(0)
	v_mul_f64 v[4:5], v[6:7], v[12:13]
	v_fma_f64 v[16:17], v[14:15], v[12:13], v[2:3]
	v_fma_f64 v[2:3], v[14:15], v[12:13], -v[2:3]
	v_fma_f64 v[12:13], v[0:1], 0.5, v[4:5]
	v_fma_f64 v[0:1], v[0:1], 0.5, -v[4:5]
	v_fma_f64 v[16:17], -v[10:11], v[6:7], v[16:17]
	v_fma_f64 v[2:3], -v[10:11], v[6:7], v[2:3]
	ds_write_b64 v38, v[16:17] offset:8
	ds_write_b64 v9, v[2:3] offset:10376
	v_fma_f64 v[5:6], v[14:15], v[10:11], v[12:13]
	v_fma_f64 v[7:8], -v[14:15], v[10:11], v[0:1]
                                        ; implicit-def: $vgpr0_vgpr1
.LBB0_17:
	s_andn2_saveexec_b64 s[4:5], s[4:5]
	s_cbranch_execz .LBB0_19
; %bb.18:
	s_mov_b32 s8, 0
	s_mov_b32 s9, s8
	v_mov_b32_e32 v11, s9
	s_waitcnt lgkmcnt(0)
	v_add_f64 v[5:6], v[0:1], v[2:3]
	v_mov_b32_e32 v10, s8
	v_add_f64 v[7:8], v[0:1], -v[2:3]
	ds_write_b64 v38, v[10:11] offset:8
	ds_write_b64 v9, v[10:11] offset:10376
	v_mov_b32_e32 v2, 0
	ds_read_b64 v[0:1], v2 offset:5192
	s_waitcnt lgkmcnt(0)
	v_xor_b32_e32 v1, 0x80000000, v1
	ds_write_b64 v2, v[0:1] offset:5192
.LBB0_19:
	s_or_b64 exec, exec, s[4:5]
	s_movk_i32 s4, 0x6c
	v_cmp_gt_u32_e32 vcc, s4, v36
	ds_write_b64 v38, v[5:6]
	ds_write_b64 v9, v[7:8] offset:10368
	s_and_saveexec_b64 s[4:5], vcc
	s_cbranch_execz .LBB0_21
; %bb.20:
	v_mov_b32_e32 v37, 0
	s_waitcnt lgkmcnt(2)
	v_lshlrev_b64 v[0:1], 4, v[36:37]
	v_mov_b32_e32 v2, s7
	v_add_co_u32_e32 v0, vcc, s6, v0
	v_addc_co_u32_e32 v1, vcc, v2, v1, vcc
	global_load_dwordx4 v[0:3], v[0:1], off offset:3456
	ds_read_b128 v[4:7], v38 offset:3456
	ds_read_b128 v[10:13], v9 offset:6912
	s_waitcnt lgkmcnt(0)
	v_add_f64 v[14:15], v[4:5], -v[10:11]
	v_add_f64 v[16:17], v[6:7], v[12:13]
	v_add_f64 v[6:7], v[6:7], -v[12:13]
	v_add_f64 v[4:5], v[4:5], v[10:11]
	v_mul_f64 v[12:13], v[14:15], 0.5
	v_mul_f64 v[14:15], v[16:17], 0.5
	;; [unrolled: 1-line block ×3, first 2 shown]
	s_waitcnt vmcnt(0)
	v_mul_f64 v[10:11], v[12:13], v[2:3]
	v_fma_f64 v[16:17], v[14:15], v[2:3], v[6:7]
	v_fma_f64 v[2:3], v[14:15], v[2:3], -v[6:7]
	v_fma_f64 v[6:7], v[4:5], 0.5, v[10:11]
	v_fma_f64 v[10:11], v[4:5], 0.5, -v[10:11]
	v_fma_f64 v[4:5], -v[0:1], v[12:13], v[16:17]
	v_fma_f64 v[12:13], -v[0:1], v[12:13], v[2:3]
	v_fma_f64 v[2:3], v[14:15], v[0:1], v[6:7]
	v_fma_f64 v[10:11], -v[14:15], v[0:1], v[10:11]
	ds_write_b128 v38, v[2:5] offset:3456
	ds_write_b128 v9, v[10:13] offset:6912
.LBB0_21:
	s_or_b64 exec, exec, s[4:5]
	s_waitcnt lgkmcnt(0)
	s_barrier
	s_and_saveexec_b64 s[4:5], s[0:1]
	s_cbranch_execz .LBB0_24
; %bb.22:
	v_mul_lo_u32 v2, s3, v34
	v_mul_lo_u32 v3, s2, v35
	v_mad_u64_u32 v[0:1], s[0:1], s2, v34, 0
	v_mov_b32_e32 v6, s11
	v_lshl_add_u32 v12, v36, 4, 0
	v_add3_u32 v1, v1, v3, v2
	v_lshlrev_b64 v[0:1], 4, v[0:1]
	v_mov_b32_e32 v37, 0
	v_add_co_u32_e32 v0, vcc, s10, v0
	v_addc_co_u32_e32 v8, vcc, v6, v1, vcc
	v_lshlrev_b64 v[6:7], 4, v[32:33]
	ds_read_b128 v[2:5], v12
	v_add_co_u32_e32 v1, vcc, v0, v6
	v_addc_co_u32_e32 v0, vcc, v8, v7, vcc
	v_lshlrev_b64 v[6:7], 4, v[36:37]
	s_movk_i32 s0, 0xd7
	v_add_co_u32_e32 v10, vcc, v1, v6
	v_addc_co_u32_e32 v11, vcc, v0, v7, vcc
	ds_read_b128 v[6:9], v12 offset:3456
	s_waitcnt lgkmcnt(1)
	global_store_dwordx4 v[10:11], v[2:5], off
	s_nop 0
	v_add_u32_e32 v2, 0xd8, v36
	v_mov_b32_e32 v3, v37
	v_lshlrev_b64 v[2:3], 4, v[2:3]
	v_add_co_u32_e32 v2, vcc, v1, v2
	v_addc_co_u32_e32 v3, vcc, v0, v3, vcc
	s_waitcnt lgkmcnt(0)
	global_store_dwordx4 v[2:3], v[6:9], off
	ds_read_b128 v[2:5], v12 offset:6912
	v_add_u32_e32 v6, 0x1b0, v36
	v_mov_b32_e32 v7, v37
	v_lshlrev_b64 v[6:7], 4, v[6:7]
	v_add_co_u32_e32 v6, vcc, v1, v6
	v_addc_co_u32_e32 v7, vcc, v0, v7, vcc
	v_cmp_eq_u32_e32 vcc, s0, v36
	s_waitcnt lgkmcnt(0)
	global_store_dwordx4 v[6:7], v[2:5], off
	s_and_b64 exec, exec, vcc
	s_cbranch_execz .LBB0_24
; %bb.23:
	ds_read_b128 v[2:5], v37 offset:10368
	v_add_co_u32_e32 v6, vcc, 0x2000, v1
	v_addc_co_u32_e32 v7, vcc, 0, v0, vcc
	s_waitcnt lgkmcnt(0)
	global_store_dwordx4 v[6:7], v[2:5], off offset:2176
.LBB0_24:
	s_endpgm
	.section	.rodata,"a",@progbits
	.p2align	6, 0x0
	.amdhsa_kernel fft_rtc_fwd_len648_factors_8_3_3_3_3_wgs_216_tpt_216_halfLds_dp_op_CI_CI_unitstride_sbrr_R2C_dirReg
		.amdhsa_group_segment_fixed_size 0
		.amdhsa_private_segment_fixed_size 0
		.amdhsa_kernarg_size 104
		.amdhsa_user_sgpr_count 6
		.amdhsa_user_sgpr_private_segment_buffer 1
		.amdhsa_user_sgpr_dispatch_ptr 0
		.amdhsa_user_sgpr_queue_ptr 0
		.amdhsa_user_sgpr_kernarg_segment_ptr 1
		.amdhsa_user_sgpr_dispatch_id 0
		.amdhsa_user_sgpr_flat_scratch_init 0
		.amdhsa_user_sgpr_private_segment_size 0
		.amdhsa_uses_dynamic_stack 0
		.amdhsa_system_sgpr_private_segment_wavefront_offset 0
		.amdhsa_system_sgpr_workgroup_id_x 1
		.amdhsa_system_sgpr_workgroup_id_y 0
		.amdhsa_system_sgpr_workgroup_id_z 0
		.amdhsa_system_sgpr_workgroup_info 0
		.amdhsa_system_vgpr_workitem_id 0
		.amdhsa_next_free_vgpr 51
		.amdhsa_next_free_sgpr 28
		.amdhsa_reserve_vcc 1
		.amdhsa_reserve_flat_scratch 0
		.amdhsa_float_round_mode_32 0
		.amdhsa_float_round_mode_16_64 0
		.amdhsa_float_denorm_mode_32 3
		.amdhsa_float_denorm_mode_16_64 3
		.amdhsa_dx10_clamp 1
		.amdhsa_ieee_mode 1
		.amdhsa_fp16_overflow 0
		.amdhsa_exception_fp_ieee_invalid_op 0
		.amdhsa_exception_fp_denorm_src 0
		.amdhsa_exception_fp_ieee_div_zero 0
		.amdhsa_exception_fp_ieee_overflow 0
		.amdhsa_exception_fp_ieee_underflow 0
		.amdhsa_exception_fp_ieee_inexact 0
		.amdhsa_exception_int_div_zero 0
	.end_amdhsa_kernel
	.text
.Lfunc_end0:
	.size	fft_rtc_fwd_len648_factors_8_3_3_3_3_wgs_216_tpt_216_halfLds_dp_op_CI_CI_unitstride_sbrr_R2C_dirReg, .Lfunc_end0-fft_rtc_fwd_len648_factors_8_3_3_3_3_wgs_216_tpt_216_halfLds_dp_op_CI_CI_unitstride_sbrr_R2C_dirReg
                                        ; -- End function
	.section	.AMDGPU.csdata,"",@progbits
; Kernel info:
; codeLenInByte = 4128
; NumSgprs: 32
; NumVgprs: 51
; ScratchSize: 0
; MemoryBound: 0
; FloatMode: 240
; IeeeMode: 1
; LDSByteSize: 0 bytes/workgroup (compile time only)
; SGPRBlocks: 3
; VGPRBlocks: 12
; NumSGPRsForWavesPerEU: 32
; NumVGPRsForWavesPerEU: 51
; Occupancy: 4
; WaveLimiterHint : 1
; COMPUTE_PGM_RSRC2:SCRATCH_EN: 0
; COMPUTE_PGM_RSRC2:USER_SGPR: 6
; COMPUTE_PGM_RSRC2:TRAP_HANDLER: 0
; COMPUTE_PGM_RSRC2:TGID_X_EN: 1
; COMPUTE_PGM_RSRC2:TGID_Y_EN: 0
; COMPUTE_PGM_RSRC2:TGID_Z_EN: 0
; COMPUTE_PGM_RSRC2:TIDIG_COMP_CNT: 0
	.type	__hip_cuid_5bb340996a4199e3,@object ; @__hip_cuid_5bb340996a4199e3
	.section	.bss,"aw",@nobits
	.globl	__hip_cuid_5bb340996a4199e3
__hip_cuid_5bb340996a4199e3:
	.byte	0                               ; 0x0
	.size	__hip_cuid_5bb340996a4199e3, 1

	.ident	"AMD clang version 19.0.0git (https://github.com/RadeonOpenCompute/llvm-project roc-6.4.0 25133 c7fe45cf4b819c5991fe208aaa96edf142730f1d)"
	.section	".note.GNU-stack","",@progbits
	.addrsig
	.addrsig_sym __hip_cuid_5bb340996a4199e3
	.amdgpu_metadata
---
amdhsa.kernels:
  - .args:
      - .actual_access:  read_only
        .address_space:  global
        .offset:         0
        .size:           8
        .value_kind:     global_buffer
      - .offset:         8
        .size:           8
        .value_kind:     by_value
      - .actual_access:  read_only
        .address_space:  global
        .offset:         16
        .size:           8
        .value_kind:     global_buffer
      - .actual_access:  read_only
        .address_space:  global
        .offset:         24
        .size:           8
        .value_kind:     global_buffer
      - .actual_access:  read_only
        .address_space:  global
        .offset:         32
        .size:           8
        .value_kind:     global_buffer
      - .offset:         40
        .size:           8
        .value_kind:     by_value
      - .actual_access:  read_only
        .address_space:  global
        .offset:         48
        .size:           8
        .value_kind:     global_buffer
      - .actual_access:  read_only
        .address_space:  global
        .offset:         56
        .size:           8
        .value_kind:     global_buffer
      - .offset:         64
        .size:           4
        .value_kind:     by_value
      - .actual_access:  read_only
        .address_space:  global
        .offset:         72
        .size:           8
        .value_kind:     global_buffer
      - .actual_access:  read_only
        .address_space:  global
        .offset:         80
        .size:           8
        .value_kind:     global_buffer
      - .actual_access:  read_only
        .address_space:  global
        .offset:         88
        .size:           8
        .value_kind:     global_buffer
      - .actual_access:  write_only
        .address_space:  global
        .offset:         96
        .size:           8
        .value_kind:     global_buffer
    .group_segment_fixed_size: 0
    .kernarg_segment_align: 8
    .kernarg_segment_size: 104
    .language:       OpenCL C
    .language_version:
      - 2
      - 0
    .max_flat_workgroup_size: 216
    .name:           fft_rtc_fwd_len648_factors_8_3_3_3_3_wgs_216_tpt_216_halfLds_dp_op_CI_CI_unitstride_sbrr_R2C_dirReg
    .private_segment_fixed_size: 0
    .sgpr_count:     32
    .sgpr_spill_count: 0
    .symbol:         fft_rtc_fwd_len648_factors_8_3_3_3_3_wgs_216_tpt_216_halfLds_dp_op_CI_CI_unitstride_sbrr_R2C_dirReg.kd
    .uniform_work_group_size: 1
    .uses_dynamic_stack: false
    .vgpr_count:     51
    .vgpr_spill_count: 0
    .wavefront_size: 64
amdhsa.target:   amdgcn-amd-amdhsa--gfx906
amdhsa.version:
  - 1
  - 2
...

	.end_amdgpu_metadata
